;; amdgpu-corpus repo=ROCm/rocFFT kind=compiled arch=gfx1030 opt=O3
	.text
	.amdgcn_target "amdgcn-amd-amdhsa--gfx1030"
	.amdhsa_code_object_version 6
	.protected	fft_rtc_back_len945_factors_3_3_3_5_7_wgs_63_tpt_63_halfLds_half_ip_CI_unitstride_sbrr_dirReg ; -- Begin function fft_rtc_back_len945_factors_3_3_3_5_7_wgs_63_tpt_63_halfLds_half_ip_CI_unitstride_sbrr_dirReg
	.globl	fft_rtc_back_len945_factors_3_3_3_5_7_wgs_63_tpt_63_halfLds_half_ip_CI_unitstride_sbrr_dirReg
	.p2align	8
	.type	fft_rtc_back_len945_factors_3_3_3_5_7_wgs_63_tpt_63_halfLds_half_ip_CI_unitstride_sbrr_dirReg,@function
fft_rtc_back_len945_factors_3_3_3_5_7_wgs_63_tpt_63_halfLds_half_ip_CI_unitstride_sbrr_dirReg: ; @fft_rtc_back_len945_factors_3_3_3_5_7_wgs_63_tpt_63_halfLds_half_ip_CI_unitstride_sbrr_dirReg
; %bb.0:
	s_clause 0x2
	s_load_dwordx4 s[8:11], s[4:5], 0x0
	s_load_dwordx2 s[2:3], s[4:5], 0x50
	s_load_dwordx2 s[12:13], s[4:5], 0x18
	v_mul_u32_u24_e32 v1, 0x411, v0
	v_mov_b32_e32 v3, 0
	v_add_nc_u32_sdwa v5, s6, v1 dst_sel:DWORD dst_unused:UNUSED_PAD src0_sel:DWORD src1_sel:WORD_1
	v_mov_b32_e32 v1, 0
	v_mov_b32_e32 v6, v3
	v_mov_b32_e32 v2, 0
	s_waitcnt lgkmcnt(0)
	v_cmp_lt_u64_e64 s0, s[10:11], 2
	s_and_b32 vcc_lo, exec_lo, s0
	s_cbranch_vccnz .LBB0_8
; %bb.1:
	s_load_dwordx2 s[0:1], s[4:5], 0x10
	v_mov_b32_e32 v1, 0
	s_add_u32 s6, s12, 8
	v_mov_b32_e32 v2, 0
	s_addc_u32 s7, s13, 0
	s_mov_b64 s[16:17], 1
	s_waitcnt lgkmcnt(0)
	s_add_u32 s14, s0, 8
	s_addc_u32 s15, s1, 0
.LBB0_2:                                ; =>This Inner Loop Header: Depth=1
	s_load_dwordx2 s[18:19], s[14:15], 0x0
                                        ; implicit-def: $vgpr7_vgpr8
	s_mov_b32 s0, exec_lo
	s_waitcnt lgkmcnt(0)
	v_or_b32_e32 v4, s19, v6
	v_cmpx_ne_u64_e32 0, v[3:4]
	s_xor_b32 s1, exec_lo, s0
	s_cbranch_execz .LBB0_4
; %bb.3:                                ;   in Loop: Header=BB0_2 Depth=1
	v_cvt_f32_u32_e32 v4, s18
	v_cvt_f32_u32_e32 v7, s19
	s_sub_u32 s0, 0, s18
	s_subb_u32 s20, 0, s19
	v_fmac_f32_e32 v4, 0x4f800000, v7
	v_rcp_f32_e32 v4, v4
	v_mul_f32_e32 v4, 0x5f7ffffc, v4
	v_mul_f32_e32 v7, 0x2f800000, v4
	v_trunc_f32_e32 v7, v7
	v_fmac_f32_e32 v4, 0xcf800000, v7
	v_cvt_u32_f32_e32 v7, v7
	v_cvt_u32_f32_e32 v4, v4
	v_mul_lo_u32 v8, s0, v7
	v_mul_hi_u32 v9, s0, v4
	v_mul_lo_u32 v10, s20, v4
	v_add_nc_u32_e32 v8, v9, v8
	v_mul_lo_u32 v9, s0, v4
	v_add_nc_u32_e32 v8, v8, v10
	v_mul_hi_u32 v10, v4, v9
	v_mul_lo_u32 v11, v4, v8
	v_mul_hi_u32 v12, v4, v8
	v_mul_hi_u32 v13, v7, v9
	v_mul_lo_u32 v9, v7, v9
	v_mul_hi_u32 v14, v7, v8
	v_mul_lo_u32 v8, v7, v8
	v_add_co_u32 v10, vcc_lo, v10, v11
	v_add_co_ci_u32_e32 v11, vcc_lo, 0, v12, vcc_lo
	v_add_co_u32 v9, vcc_lo, v10, v9
	v_add_co_ci_u32_e32 v9, vcc_lo, v11, v13, vcc_lo
	v_add_co_ci_u32_e32 v10, vcc_lo, 0, v14, vcc_lo
	v_add_co_u32 v8, vcc_lo, v9, v8
	v_add_co_ci_u32_e32 v9, vcc_lo, 0, v10, vcc_lo
	v_add_co_u32 v4, vcc_lo, v4, v8
	v_add_co_ci_u32_e32 v7, vcc_lo, v7, v9, vcc_lo
	v_mul_hi_u32 v8, s0, v4
	v_mul_lo_u32 v10, s20, v4
	v_mul_lo_u32 v9, s0, v7
	v_add_nc_u32_e32 v8, v8, v9
	v_mul_lo_u32 v9, s0, v4
	v_add_nc_u32_e32 v8, v8, v10
	v_mul_hi_u32 v10, v4, v9
	v_mul_lo_u32 v11, v4, v8
	v_mul_hi_u32 v12, v4, v8
	v_mul_hi_u32 v13, v7, v9
	v_mul_lo_u32 v9, v7, v9
	v_mul_hi_u32 v14, v7, v8
	v_mul_lo_u32 v8, v7, v8
	v_add_co_u32 v10, vcc_lo, v10, v11
	v_add_co_ci_u32_e32 v11, vcc_lo, 0, v12, vcc_lo
	v_add_co_u32 v9, vcc_lo, v10, v9
	v_add_co_ci_u32_e32 v9, vcc_lo, v11, v13, vcc_lo
	v_add_co_ci_u32_e32 v10, vcc_lo, 0, v14, vcc_lo
	v_add_co_u32 v8, vcc_lo, v9, v8
	v_add_co_ci_u32_e32 v9, vcc_lo, 0, v10, vcc_lo
	v_add_co_u32 v4, vcc_lo, v4, v8
	v_add_co_ci_u32_e32 v11, vcc_lo, v7, v9, vcc_lo
	v_mul_hi_u32 v13, v5, v4
	v_mad_u64_u32 v[9:10], null, v6, v4, 0
	v_mad_u64_u32 v[7:8], null, v5, v11, 0
	;; [unrolled: 1-line block ×3, first 2 shown]
	v_add_co_u32 v4, vcc_lo, v13, v7
	v_add_co_ci_u32_e32 v7, vcc_lo, 0, v8, vcc_lo
	v_add_co_u32 v4, vcc_lo, v4, v9
	v_add_co_ci_u32_e32 v4, vcc_lo, v7, v10, vcc_lo
	v_add_co_ci_u32_e32 v7, vcc_lo, 0, v12, vcc_lo
	v_add_co_u32 v4, vcc_lo, v4, v11
	v_add_co_ci_u32_e32 v9, vcc_lo, 0, v7, vcc_lo
	v_mul_lo_u32 v10, s19, v4
	v_mad_u64_u32 v[7:8], null, s18, v4, 0
	v_mul_lo_u32 v11, s18, v9
	v_sub_co_u32 v7, vcc_lo, v5, v7
	v_add3_u32 v8, v8, v11, v10
	v_sub_nc_u32_e32 v10, v6, v8
	v_subrev_co_ci_u32_e64 v10, s0, s19, v10, vcc_lo
	v_add_co_u32 v11, s0, v4, 2
	v_add_co_ci_u32_e64 v12, s0, 0, v9, s0
	v_sub_co_u32 v13, s0, v7, s18
	v_sub_co_ci_u32_e32 v8, vcc_lo, v6, v8, vcc_lo
	v_subrev_co_ci_u32_e64 v10, s0, 0, v10, s0
	v_cmp_le_u32_e32 vcc_lo, s18, v13
	v_cmp_eq_u32_e64 s0, s19, v8
	v_cndmask_b32_e64 v13, 0, -1, vcc_lo
	v_cmp_le_u32_e32 vcc_lo, s19, v10
	v_cndmask_b32_e64 v14, 0, -1, vcc_lo
	v_cmp_le_u32_e32 vcc_lo, s18, v7
	;; [unrolled: 2-line block ×3, first 2 shown]
	v_cndmask_b32_e64 v15, 0, -1, vcc_lo
	v_cmp_eq_u32_e32 vcc_lo, s19, v10
	v_cndmask_b32_e64 v7, v15, v7, s0
	v_cndmask_b32_e32 v10, v14, v13, vcc_lo
	v_add_co_u32 v13, vcc_lo, v4, 1
	v_add_co_ci_u32_e32 v14, vcc_lo, 0, v9, vcc_lo
	v_cmp_ne_u32_e32 vcc_lo, 0, v10
	v_cndmask_b32_e32 v8, v14, v12, vcc_lo
	v_cndmask_b32_e32 v10, v13, v11, vcc_lo
	v_cmp_ne_u32_e32 vcc_lo, 0, v7
	v_cndmask_b32_e32 v8, v9, v8, vcc_lo
	v_cndmask_b32_e32 v7, v4, v10, vcc_lo
.LBB0_4:                                ;   in Loop: Header=BB0_2 Depth=1
	s_andn2_saveexec_b32 s0, s1
	s_cbranch_execz .LBB0_6
; %bb.5:                                ;   in Loop: Header=BB0_2 Depth=1
	v_cvt_f32_u32_e32 v4, s18
	s_sub_i32 s1, 0, s18
	v_rcp_iflag_f32_e32 v4, v4
	v_mul_f32_e32 v4, 0x4f7ffffe, v4
	v_cvt_u32_f32_e32 v4, v4
	v_mul_lo_u32 v7, s1, v4
	v_mul_hi_u32 v7, v4, v7
	v_add_nc_u32_e32 v4, v4, v7
	v_mul_hi_u32 v4, v5, v4
	v_mul_lo_u32 v7, v4, s18
	v_add_nc_u32_e32 v8, 1, v4
	v_sub_nc_u32_e32 v7, v5, v7
	v_subrev_nc_u32_e32 v9, s18, v7
	v_cmp_le_u32_e32 vcc_lo, s18, v7
	v_cndmask_b32_e32 v7, v7, v9, vcc_lo
	v_cndmask_b32_e32 v4, v4, v8, vcc_lo
	v_cmp_le_u32_e32 vcc_lo, s18, v7
	v_add_nc_u32_e32 v8, 1, v4
	v_cndmask_b32_e32 v7, v4, v8, vcc_lo
	v_mov_b32_e32 v8, v3
.LBB0_6:                                ;   in Loop: Header=BB0_2 Depth=1
	s_or_b32 exec_lo, exec_lo, s0
	s_load_dwordx2 s[0:1], s[6:7], 0x0
	v_mul_lo_u32 v4, v8, s18
	v_mul_lo_u32 v11, v7, s19
	v_mad_u64_u32 v[9:10], null, v7, s18, 0
	s_add_u32 s16, s16, 1
	s_addc_u32 s17, s17, 0
	s_add_u32 s6, s6, 8
	s_addc_u32 s7, s7, 0
	;; [unrolled: 2-line block ×3, first 2 shown]
	v_add3_u32 v4, v10, v11, v4
	v_sub_co_u32 v5, vcc_lo, v5, v9
	v_sub_co_ci_u32_e32 v4, vcc_lo, v6, v4, vcc_lo
	s_waitcnt lgkmcnt(0)
	v_mul_lo_u32 v6, s1, v5
	v_mul_lo_u32 v4, s0, v4
	v_mad_u64_u32 v[1:2], null, s0, v5, v[1:2]
	v_cmp_ge_u64_e64 s0, s[16:17], s[10:11]
	s_and_b32 vcc_lo, exec_lo, s0
	v_add3_u32 v2, v6, v2, v4
	s_cbranch_vccnz .LBB0_9
; %bb.7:                                ;   in Loop: Header=BB0_2 Depth=1
	v_mov_b32_e32 v5, v7
	v_mov_b32_e32 v6, v8
	s_branch .LBB0_2
.LBB0_8:
	v_mov_b32_e32 v8, v6
	v_mov_b32_e32 v7, v5
.LBB0_9:
	s_lshl_b64 s[0:1], s[10:11], 3
	v_mul_hi_u32 v5, 0x4104105, v0
	s_add_u32 s0, s12, s0
	s_addc_u32 s1, s13, s1
                                        ; implicit-def: $vgpr31
                                        ; implicit-def: $vgpr24
                                        ; implicit-def: $vgpr32
                                        ; implicit-def: $vgpr29
                                        ; implicit-def: $vgpr27
                                        ; implicit-def: $vgpr20
                                        ; implicit-def: $vgpr25
                                        ; implicit-def: $vgpr17
                                        ; implicit-def: $vgpr26
                                        ; implicit-def: $vgpr22
                                        ; implicit-def: $vgpr9
                                        ; implicit-def: $vgpr21
                                        ; implicit-def: $vgpr18
                                        ; implicit-def: $vgpr15
                                        ; implicit-def: $vgpr13
                                        ; implicit-def: $vgpr19
                                        ; implicit-def: $vgpr14
                                        ; implicit-def: $vgpr11
                                        ; implicit-def: $vgpr23
                                        ; implicit-def: $vgpr16
                                        ; implicit-def: $vgpr6
                                        ; implicit-def: $vgpr12
                                        ; implicit-def: $vgpr30
                                        ; implicit-def: $vgpr28
                                        ; implicit-def: $vgpr10
	s_load_dwordx2 s[0:1], s[0:1], 0x0
	s_load_dwordx2 s[4:5], s[4:5], 0x20
	s_waitcnt lgkmcnt(0)
	v_mul_lo_u32 v3, s0, v8
	v_mul_lo_u32 v4, s1, v7
	v_mad_u64_u32 v[1:2], null, s0, v7, v[1:2]
	v_cmp_gt_u64_e32 vcc_lo, s[4:5], v[7:8]
                                        ; implicit-def: $vgpr8
                                        ; implicit-def: $vgpr7
	v_add3_u32 v2, v4, v2, v3
	v_mul_u32_u24_e32 v4, 63, v5
                                        ; implicit-def: $vgpr5
	v_lshlrev_b64 v[2:3], 2, v[1:2]
	v_sub_nc_u32_e32 v0, v0, v4
                                        ; implicit-def: $vgpr1
                                        ; implicit-def: $vgpr4
	s_and_saveexec_b32 s1, vcc_lo
	s_cbranch_execz .LBB0_11
; %bb.10:
	v_mov_b32_e32 v1, 0
	v_lshlrev_b64 v[4:5], 2, v[0:1]
	v_add_co_u32 v1, s0, s2, v2
	v_add_co_ci_u32_e64 v6, s0, s3, v3, s0
	v_add_co_u32 v4, s0, v1, v4
	v_add_co_ci_u32_e64 v5, s0, v6, v5, s0
	;; [unrolled: 2-line block ×3, first 2 shown]
	s_clause 0xe
	global_load_dword v1, v[4:5], off
	global_load_dword v10, v[4:5], off offset:252
	global_load_dword v24, v[4:5], off offset:1260
	;; [unrolled: 1-line block ×14, first 2 shown]
	s_waitcnt vmcnt(14)
	v_lshrrev_b32_e32 v8, 16, v1
	s_waitcnt vmcnt(13)
	v_lshrrev_b32_e32 v7, 16, v10
	;; [unrolled: 2-line block ×15, first 2 shown]
.LBB0_11:
	s_or_b32 exec_lo, exec_lo, s1
	v_add_f16_e32 v36, v31, v32
	v_add_f16_e32 v33, v24, v29
	;; [unrolled: 1-line block ×3, first 2 shown]
	v_sub_f16_e32 v35, v31, v32
	v_add_f16_e32 v31, v8, v31
	v_sub_f16_e32 v24, v24, v29
	v_fmac_f16_e32 v8, -0.5, v36
	v_fmac_f16_e32 v1, -0.5, v33
	v_add_f16_e32 v29, v34, v29
	v_add_f16_e32 v38, v31, v32
	;; [unrolled: 1-line block ×3, first 2 shown]
	v_fmamk_f16 v39, v24, 0x3aee, v8
	v_fmac_f16_e32 v8, 0xbaee, v24
	v_add_f16_e32 v24, v27, v30
	v_add_f16_e32 v32, v20, v10
	v_fmac_f16_e32 v10, -0.5, v31
	v_sub_f16_e32 v31, v27, v30
	v_add_f16_e32 v27, v27, v7
	v_fmac_f16_e32 v7, -0.5, v24
	v_sub_f16_e32 v20, v20, v28
	v_add_f16_e32 v32, v28, v32
	v_add_f16_e32 v28, v17, v12
	;; [unrolled: 1-line block ×4, first 2 shown]
	v_fmamk_f16 v41, v20, 0x3aee, v7
	v_fmac_f16_e32 v7, 0xbaee, v20
	v_add_f16_e32 v20, v25, v26
	v_add_f16_e32 v28, v22, v28
	v_fmac_f16_e32 v12, -0.5, v27
	v_sub_f16_e32 v27, v25, v26
	v_add_f16_e32 v25, v25, v6
	v_fmac_f16_e32 v6, -0.5, v20
	v_sub_f16_e32 v17, v17, v22
	v_add_f16_e32 v22, v18, v16
	v_mad_u32_u24 v44, v0, 6, 0
	v_add_f16_e32 v26, v26, v25
	v_add_f16_e32 v25, v9, v16
	v_fmamk_f16 v42, v17, 0x3aee, v6
	v_fmac_f16_e32 v6, 0xbaee, v17
	v_add_f16_e32 v17, v21, v23
	v_fmac_f16_e32 v9, -0.5, v22
	v_sub_f16_e32 v22, v23, v21
	v_add_f16_e32 v23, v4, v23
	v_add_f16_e32 v25, v18, v25
	v_fmac_f16_e32 v4, -0.5, v17
	v_sub_f16_e32 v16, v16, v18
	v_fmamk_f16 v33, v35, 0xbaee, v1
	v_add_f16_e32 v18, v21, v23
	v_add_f16_e32 v21, v13, v14
	v_fmac_f16_e32 v1, 0x3aee, v35
	v_fmamk_f16 v24, v31, 0xbaee, v10
	v_fmac_f16_e32 v10, 0x3aee, v31
	v_fmamk_f16 v17, v22, 0xbaee, v9
	;; [unrolled: 2-line block ×3, first 2 shown]
	v_add_f16_e32 v22, v14, v11
	v_fmac_f16_e32 v4, 0xbaee, v16
	v_add_f16_e32 v16, v15, v19
	v_fmac_f16_e32 v11, -0.5, v21
	v_sub_f16_e32 v21, v19, v15
	ds_write_b16 v44, v29
	ds_write_b16 v44, v33 offset:2
	ds_write_b16 v44, v1 offset:4
	;; [unrolled: 1-line block ×5, first 2 shown]
	v_lshlrev_b32_e32 v1, 2, v0
	v_add_f16_e32 v22, v13, v22
	v_add_f16_e32 v19, v19, v5
	v_fmac_f16_e32 v5, -0.5, v16
	v_fmamk_f16 v16, v21, 0xbaee, v11
	v_fmac_f16_e32 v11, 0x3aee, v21
	v_sub_nc_u32_e32 v1, v44, v1
	v_fmamk_f16 v20, v27, 0xbaee, v12
	v_fmac_f16_e32 v12, 0x3aee, v27
	ds_write_b16 v44, v28 offset:756
	ds_write_b16 v44, v20 offset:758
	;; [unrolled: 1-line block ×6, first 2 shown]
	v_add_nc_u32_e32 v20, 0xfc, v0
	ds_write_b16 v44, v22 offset:1512
	ds_write_b16 v44, v16 offset:1514
	;; [unrolled: 1-line block ×3, first 2 shown]
	s_waitcnt lgkmcnt(0)
	s_barrier
	buffer_gl0_inv
	ds_read_u16 v27, v1 offset:882
	ds_read_u16 v25, v1
	ds_read_u16 v24, v1 offset:126
	ds_read_u16 v22, v1 offset:252
	;; [unrolled: 1-line block ×13, first 2 shown]
	s_waitcnt lgkmcnt(0)
	s_barrier
	buffer_gl0_inv
	ds_write_b16 v44, v38
	ds_write_b16 v44, v39 offset:2
	ds_write_b16 v44, v8 offset:4
	;; [unrolled: 1-line block ×8, first 2 shown]
	v_mov_b32_e32 v7, 0xaaab
	v_add_f16_e32 v19, v15, v19
	ds_write_b16 v44, v18 offset:1134
	ds_write_b16 v44, v43 offset:1136
	;; [unrolled: 1-line block ×4, first 2 shown]
	v_mul_u32_u24_sdwa v4, v20, v7 dst_sel:DWORD dst_unused:UNUSED_PAD src0_sel:WORD_0 src1_sel:DWORD
	v_sub_f16_e32 v13, v14, v13
	v_add_nc_u32_e32 v14, 0x7e, v0
	v_and_b32_e32 v17, 0xff, v0
	v_add_nc_u16 v15, v0, 63
	v_lshrrev_b32_e32 v39, 17, v4
	v_fmamk_f16 v45, v13, 0x3aee, v5
	v_and_b32_e32 v18, 0xff, v14
	v_mul_lo_u16 v6, 0xab, v17
	v_and_b32_e32 v19, 0xff, v15
	v_mul_lo_u16 v4, v39, 3
	v_add_nc_u16 v33, v0, 0xbd
	v_fmac_f16_e32 v5, 0xbaee, v13
	v_lshrrev_b16 v38, 9, v6
	ds_write_b16 v44, v45 offset:1514
	ds_write_b16 v44, v5 offset:1516
	v_mul_lo_u16 v5, 0xab, v19
	v_sub_nc_u16 v43, v20, v4
	v_mul_lo_u16 v4, 0xab, v18
	v_and_b32_e32 v40, 0xff, v33
	v_mul_lo_u16 v6, v38, 3
	v_lshrrev_b16 v41, 9, v5
	v_mov_b32_e32 v26, 3
	v_lshrrev_b16 v44, 9, v4
	v_mul_lo_u16 v4, 0xab, v40
	v_sub_nc_u16 v42, v0, v6
	v_mul_lo_u16 v6, v41, 3
	v_lshlrev_b32_sdwa v7, v26, v43 dst_sel:DWORD dst_unused:UNUSED_PAD src0_sel:DWORD src1_sel:WORD_0
	s_waitcnt lgkmcnt(0)
	v_lshrrev_b16 v46, 9, v4
	v_mul_lo_u16 v4, v44, 3
	v_lshlrev_b32_sdwa v5, v26, v42 dst_sel:DWORD dst_unused:UNUSED_PAD src0_sel:DWORD src1_sel:BYTE_0
	v_sub_nc_u16 v45, v15, v6
	s_barrier
	v_mul_lo_u16 v8, v46, 3
	v_sub_nc_u16 v47, v14, v4
	buffer_gl0_inv
	s_clause 0x1
	global_load_dwordx2 v[12:13], v5, s[8:9]
	global_load_dwordx2 v[10:11], v7, s[8:9]
	v_lshlrev_b32_sdwa v5, v26, v45 dst_sel:DWORD dst_unused:UNUSED_PAD src0_sel:DWORD src1_sel:BYTE_0
	v_sub_nc_u16 v48, v33, v8
	v_lshlrev_b32_sdwa v4, v26, v47 dst_sel:DWORD dst_unused:UNUSED_PAD src0_sel:DWORD src1_sel:BYTE_0
	v_mul_lo_u16 v52, v19, 57
	v_mov_b32_e32 v16, 1
	global_load_dwordx2 v[6:7], v5, s[8:9]
	v_lshlrev_b32_sdwa v5, v26, v48 dst_sel:DWORD dst_unused:UNUSED_PAD src0_sel:DWORD src1_sel:BYTE_0
	s_clause 0x1
	global_load_dwordx2 v[8:9], v4, s[8:9]
	global_load_dwordx2 v[4:5], v5, s[8:9]
	ds_read_u16 v55, v1 offset:1386
	ds_read_u16 v56, v1 offset:1512
	;; [unrolled: 1-line block ×6, first 2 shown]
	ds_read_u16 v61, v1
	ds_read_u16 v62, v1 offset:126
	ds_read_u16 v63, v1 offset:252
	;; [unrolled: 1-line block ×8, first 2 shown]
	v_mov_b32_e32 v51, 18
	v_mul_lo_u16 v54, v40, 57
	v_mul_u32_u24_e32 v72, 18, v39
	v_lshrrev_b16 v39, 9, v52
	v_lshlrev_b32_sdwa v47, v16, v47 dst_sel:DWORD dst_unused:UNUSED_PAD src0_sel:DWORD src1_sel:BYTE_0
	v_mul_u32_u24_sdwa v44, v44, v51 dst_sel:DWORD dst_unused:UNUSED_PAD src0_sel:WORD_0 src1_sel:DWORD
	v_mul_u32_u24_sdwa v46, v46, v51 dst_sel:DWORD dst_unused:UNUSED_PAD src0_sel:WORD_0 src1_sel:DWORD
	v_lshlrev_b32_sdwa v48, v16, v48 dst_sel:DWORD dst_unused:UNUSED_PAD src0_sel:DWORD src1_sel:BYTE_0
	v_mul_u32_u24_sdwa v70, v38, v51 dst_sel:DWORD dst_unused:UNUSED_PAD src0_sel:WORD_0 src1_sel:DWORD
	v_lshrrev_b16 v38, 9, v54
	v_mul_u32_u24_sdwa v52, v41, v51 dst_sel:DWORD dst_unused:UNUSED_PAD src0_sel:WORD_0 src1_sel:DWORD
	v_mul_lo_u16 v51, v39, 9
	v_lshlrev_b32_sdwa v54, v16, v42 dst_sel:DWORD dst_unused:UNUSED_PAD src0_sel:DWORD src1_sel:BYTE_0
	v_lshlrev_b32_sdwa v43, v16, v43 dst_sel:DWORD dst_unused:UNUSED_PAD src0_sel:DWORD src1_sel:WORD_0
	v_lshlrev_b32_sdwa v45, v16, v45 dst_sel:DWORD dst_unused:UNUSED_PAD src0_sel:DWORD src1_sel:BYTE_0
	v_add3_u32 v44, 0, v44, v47
	v_add3_u32 v46, 0, v46, v48
	v_sub_nc_u16 v42, v15, v51
	v_add3_u32 v51, 0, v70, v54
	v_add3_u32 v43, 0, v72, v43
	;; [unrolled: 1-line block ×3, first 2 shown]
	v_mul_lo_u16 v50, v17, 57
	v_mul_lo_u16 v53, v18, 57
	v_mov_b32_e32 v49, 0xe38f
	s_waitcnt vmcnt(0) lgkmcnt(0)
	s_barrier
	v_lshrrev_b16 v50, 9, v50
	v_lshrrev_b16 v40, 9, v53
	v_mul_u32_u24_sdwa v49, v20, v49 dst_sel:DWORD dst_unused:UNUSED_PAD src0_sel:WORD_0 src1_sel:DWORD
	buffer_gl0_inv
	v_mul_lo_u16 v17, v17, 19
	v_mul_lo_u16 v71, v50, 9
	;; [unrolled: 1-line block ×4, first 2 shown]
	v_cmp_gt_u32_e64 s0, 9, v0
	v_lshrrev_b16 v17, 9, v17
	v_sub_nc_u16 v41, v0, v71
	v_lshlrev_b32_sdwa v71, v26, v41 dst_sel:DWORD dst_unused:UNUSED_PAD src0_sel:DWORD src1_sel:BYTE_0
	v_mul_f16_sdwa v47, v64, v12 dst_sel:DWORD dst_unused:UNUSED_PAD src0_sel:DWORD src1_sel:WORD_1
	v_mul_f16_sdwa v48, v35, v12 dst_sel:DWORD dst_unused:UNUSED_PAD src0_sel:DWORD src1_sel:WORD_1
	;; [unrolled: 1-line block ×8, first 2 shown]
	v_fmac_f16_e32 v47, v35, v12
	v_fma_f16 v12, v64, v12, -v48
	v_mul_f16_sdwa v35, v59, v6 dst_sel:DWORD dst_unused:UNUSED_PAD src0_sel:DWORD src1_sel:WORD_1
	v_fmac_f16_e32 v73, v34, v11
	v_fma_f16 v11, v58, v11, -v74
	v_mul_f16_sdwa v34, v55, v7 dst_sel:DWORD dst_unused:UNUSED_PAD src0_sel:DWORD src1_sel:WORD_1
	v_mul_f16_sdwa v58, v56, v9 dst_sel:DWORD dst_unused:UNUSED_PAD src0_sel:DWORD src1_sel:WORD_1
	v_fmac_f16_e32 v52, v37, v13
	v_fma_f16 v13, v67, v13, -v54
	v_fmac_f16_e32 v70, v36, v10
	v_mul_f16_sdwa v36, v31, v6 dst_sel:DWORD dst_unused:UNUSED_PAD src0_sel:DWORD src1_sel:WORD_1
	v_fma_f16 v10, v68, v10, -v72
	v_mul_f16_sdwa v37, v32, v7 dst_sel:DWORD dst_unused:UNUSED_PAD src0_sel:DWORD src1_sel:WORD_1
	v_mul_f16_sdwa v48, v60, v8 dst_sel:DWORD dst_unused:UNUSED_PAD src0_sel:DWORD src1_sel:WORD_1
	;; [unrolled: 1-line block ×8, first 2 shown]
	v_fmac_f16_e32 v35, v31, v6
	v_fmac_f16_e32 v34, v32, v7
	;; [unrolled: 1-line block ×3, first 2 shown]
	v_add_f16_e32 v30, v61, v12
	v_fma_f16 v6, v59, v6, -v36
	v_fma_f16 v7, v55, v7, -v37
	v_fmac_f16_e32 v48, v27, v8
	v_fmac_f16_e32 v67, v28, v4
	;; [unrolled: 1-line block ×3, first 2 shown]
	v_add_f16_e32 v27, v25, v47
	v_add_f16_e32 v28, v47, v52
	v_sub_f16_e32 v29, v12, v13
	v_add_f16_e32 v12, v12, v13
	v_sub_f16_e32 v31, v47, v52
	v_add_f16_e32 v32, v23, v70
	v_sub_f16_e32 v37, v10, v11
	v_add_f16_e32 v47, v65, v10
	v_add_f16_e32 v10, v10, v11
	v_fma_f16 v8, v60, v8, -v54
	v_fma_f16 v9, v56, v9, -v64
	;; [unrolled: 1-line block ×4, first 2 shown]
	v_add_f16_e32 v13, v30, v13
	v_add_f16_e32 v30, v35, v34
	;; [unrolled: 1-line block ×3, first 2 shown]
	v_fmac_f16_e32 v61, -0.5, v12
	v_add_f16_e32 v12, v32, v73
	v_add_f16_e32 v11, v47, v11
	v_sub_f16_e32 v32, v6, v7
	v_fmac_f16_e32 v65, -0.5, v10
	v_add_f16_e32 v10, v62, v6
	v_add_f16_e32 v6, v6, v7
	;; [unrolled: 1-line block ×5, first 2 shown]
	v_fmac_f16_e32 v25, -0.5, v28
	v_sub_f16_e32 v52, v8, v9
	v_add_f16_e32 v55, v63, v8
	v_add_f16_e32 v8, v8, v9
	v_sub_f16_e32 v59, v4, v5
	v_add_f16_e32 v60, v66, v4
	v_add_f16_e32 v4, v4, v5
	;; [unrolled: 1-line block ×3, first 2 shown]
	v_fmac_f16_e32 v24, -0.5, v30
	v_fmac_f16_e32 v23, -0.5, v36
	v_sub_f16_e32 v35, v35, v34
	v_add_f16_e32 v36, v22, v48
	v_add_f16_e32 v56, v21, v67
	v_fmac_f16_e32 v62, -0.5, v6
	v_fmac_f16_e32 v22, -0.5, v47
	v_fmac_f16_e32 v21, -0.5, v57
	v_sub_f16_e32 v54, v70, v73
	v_sub_f16_e32 v48, v48, v58
	;; [unrolled: 1-line block ×3, first 2 shown]
	v_fmamk_f16 v67, v29, 0xbaee, v25
	v_fmac_f16_e32 v63, -0.5, v8
	v_fmac_f16_e32 v66, -0.5, v4
	v_fmac_f16_e32 v25, 0x3aee, v29
	v_fmamk_f16 v68, v31, 0x3aee, v61
	v_fmac_f16_e32 v61, 0xbaee, v31
	v_add_f16_e32 v28, v28, v34
	v_add_f16_e32 v7, v10, v7
	ds_write_b16 v51, v27
	v_fmamk_f16 v27, v32, 0xbaee, v24
	v_fmamk_f16 v4, v37, 0xbaee, v23
	v_fmac_f16_e32 v23, 0x3aee, v37
	v_fmac_f16_e32 v24, 0x3aee, v32
	v_fmamk_f16 v47, v35, 0x3aee, v62
	v_fmamk_f16 v29, v52, 0xbaee, v22
	v_fmac_f16_e32 v22, 0x3aee, v52
	v_fmamk_f16 v30, v59, 0xbaee, v21
	v_fmac_f16_e32 v21, 0x3aee, v59
	v_add_f16_e32 v6, v36, v58
	v_add_f16_e32 v9, v55, v9
	;; [unrolled: 1-line block ×4, first 2 shown]
	v_fmamk_f16 v10, v54, 0x3aee, v65
	v_fmac_f16_e32 v65, 0xbaee, v54
	v_fmac_f16_e32 v62, 0xbaee, v35
	v_fmamk_f16 v52, v48, 0x3aee, v63
	v_fmac_f16_e32 v63, 0xbaee, v48
	v_fmamk_f16 v48, v64, 0x3aee, v66
	v_fmac_f16_e32 v66, 0xbaee, v64
	ds_write_b16 v51, v67 offset:6
	ds_write_b16 v51, v25 offset:12
	ds_write_b16 v45, v28
	ds_write_b16 v45, v27 offset:6
	ds_write_b16 v45, v24 offset:12
	ds_write_b16 v44, v6
	;; [unrolled: 3-line block ×4, first 2 shown]
	ds_write_b16 v43, v4 offset:6
	ds_write_b16 v43, v23 offset:12
	s_waitcnt lgkmcnt(0)
	s_barrier
	buffer_gl0_inv
	ds_read_u16 v27, v1 offset:882
	ds_read_u16 v25, v1
	ds_read_u16 v24, v1 offset:126
	ds_read_u16 v23, v1 offset:252
	;; [unrolled: 1-line block ×13, first 2 shown]
	s_waitcnt lgkmcnt(0)
	s_barrier
	buffer_gl0_inv
	ds_write_b16 v51, v13
	ds_write_b16 v51, v68 offset:6
	ds_write_b16 v51, v61 offset:12
	ds_write_b16 v45, v7
	ds_write_b16 v45, v47 offset:6
	ds_write_b16 v45, v62 offset:12
	;; [unrolled: 3-line block ×5, first 2 shown]
	v_lshrrev_b32_e32 v43, 19, v49
	v_mul_lo_u16 v6, v38, 9
	v_sub_nc_u16 v44, v14, v53
	v_lshlrev_b32_sdwa v7, v26, v42 dst_sel:DWORD dst_unused:UNUSED_PAD src0_sel:DWORD src1_sel:BYTE_0
	s_waitcnt lgkmcnt(0)
	v_mul_lo_u16 v10, v43, 9
	v_sub_nc_u16 v33, v33, v6
	v_lshlrev_b32_sdwa v6, v26, v44 dst_sel:DWORD dst_unused:UNUSED_PAD src0_sel:DWORD src1_sel:BYTE_0
	s_barrier
	buffer_gl0_inv
	v_sub_nc_u16 v20, v20, v10
	s_clause 0x2
	global_load_dwordx2 v[4:5], v71, s[8:9] offset:24
	global_load_dwordx2 v[8:9], v7, s[8:9] offset:24
	global_load_dwordx2 v[10:11], v6, s[8:9] offset:24
	v_lshlrev_b32_sdwa v7, v26, v33 dst_sel:DWORD dst_unused:UNUSED_PAD src0_sel:DWORD src1_sel:BYTE_0
	v_lshlrev_b32_sdwa v6, v26, v20 dst_sel:DWORD dst_unused:UNUSED_PAD src0_sel:DWORD src1_sel:WORD_0
	s_clause 0x1
	global_load_dwordx2 v[12:13], v7, s[8:9] offset:24
	global_load_dwordx2 v[6:7], v6, s[8:9] offset:24
	v_mov_b32_e32 v26, 54
	v_mul_lo_u16 v46, v18, 19
	v_mul_lo_u16 v48, v17, 27
	v_lshrrev_b16 v18, 9, v19
	v_mul_u32_u24_e32 v19, 54, v43
	v_mul_u32_u24_sdwa v39, v39, v26 dst_sel:DWORD dst_unused:UNUSED_PAD src0_sel:WORD_0 src1_sel:DWORD
	v_lshlrev_b32_sdwa v20, v16, v20 dst_sel:DWORD dst_unused:UNUSED_PAD src0_sel:DWORD src1_sel:WORD_0
	v_lshlrev_b32_sdwa v42, v16, v42 dst_sel:DWORD dst_unused:UNUSED_PAD src0_sel:DWORD src1_sel:BYTE_0
	v_mul_u32_u24_sdwa v47, v50, v26 dst_sel:DWORD dst_unused:UNUSED_PAD src0_sel:WORD_0 src1_sel:DWORD
	v_lshrrev_b16 v43, 9, v46
	v_mul_u32_u24_sdwa v40, v40, v26 dst_sel:DWORD dst_unused:UNUSED_PAD src0_sel:WORD_0 src1_sel:DWORD
	v_sub_nc_u16 v46, v0, v48
	v_mul_lo_u16 v48, v18, 27
	v_mul_u32_u24_sdwa v26, v38, v26 dst_sel:DWORD dst_unused:UNUSED_PAD src0_sel:WORD_0 src1_sel:DWORD
	v_lshlrev_b32_sdwa v38, v16, v41 dst_sel:DWORD dst_unused:UNUSED_PAD src0_sel:DWORD src1_sel:BYTE_0
	v_lshlrev_b32_sdwa v44, v16, v44 dst_sel:DWORD dst_unused:UNUSED_PAD src0_sel:DWORD src1_sel:BYTE_0
	;; [unrolled: 1-line block ×3, first 2 shown]
	v_add3_u32 v19, 0, v19, v20
	v_add3_u32 v20, 0, v39, v42
	ds_read_u16 v39, v1 offset:630
	ds_read_u16 v42, v1 offset:1260
	v_sub_nc_u16 v15, v15, v48
	v_add3_u32 v38, 0, v47, v38
	v_add3_u32 v40, 0, v40, v44
	;; [unrolled: 1-line block ×3, first 2 shown]
	ds_read_u16 v33, v1 offset:756
	ds_read_u16 v44, v1 offset:882
	;; [unrolled: 1-line block ×4, first 2 shown]
	ds_read_u16 v49, v1
	ds_read_u16 v50, v1 offset:126
	ds_read_u16 v51, v1 offset:252
	ds_read_u16 v52, v1 offset:378
	ds_read_u16 v53, v1 offset:1008
	ds_read_u16 v54, v1 offset:504
	ds_read_u16 v55, v1 offset:1638
	ds_read_u16 v56, v1 offset:1764
	ds_read_u16 v57, v1 offset:1134
	v_mov_b32_e32 v45, 4
	s_waitcnt vmcnt(0) lgkmcnt(0)
	s_barrier
	buffer_gl0_inv
	v_lshlrev_b32_sdwa v41, v45, v46 dst_sel:DWORD dst_unused:UNUSED_PAD src0_sel:DWORD src1_sel:BYTE_0
	v_mul_f16_sdwa v58, v39, v4 dst_sel:DWORD dst_unused:UNUSED_PAD src0_sel:DWORD src1_sel:WORD_1
	v_mul_f16_sdwa v60, v42, v5 dst_sel:DWORD dst_unused:UNUSED_PAD src0_sel:DWORD src1_sel:WORD_1
	;; [unrolled: 1-line block ×13, first 2 shown]
	v_fmac_f16_e32 v58, v36, v4
	v_mul_f16_sdwa v36, v29, v7 dst_sel:DWORD dst_unused:UNUSED_PAD src0_sel:DWORD src1_sel:WORD_1
	v_fmac_f16_e32 v60, v37, v5
	v_mul_f16_sdwa v63, v34, v8 dst_sel:DWORD dst_unused:UNUSED_PAD src0_sel:DWORD src1_sel:WORD_1
	v_mul_f16_sdwa v65, v35, v9 dst_sel:DWORD dst_unused:UNUSED_PAD src0_sel:DWORD src1_sel:WORD_1
	v_fmac_f16_e32 v62, v34, v8
	v_fmac_f16_e32 v64, v35, v9
	v_mul_f16_sdwa v67, v27, v10 dst_sel:DWORD dst_unused:UNUSED_PAD src0_sel:DWORD src1_sel:WORD_1
	v_mul_f16_sdwa v69, v32, v11 dst_sel:DWORD dst_unused:UNUSED_PAD src0_sel:DWORD src1_sel:WORD_1
	;; [unrolled: 1-line block ×4, first 2 shown]
	v_fma_f16 v4, v39, v4, -v59
	v_fma_f16 v5, v42, v5, -v61
	v_fmac_f16_e32 v66, v27, v10
	v_fmac_f16_e32 v68, v32, v11
	v_fmac_f16_e32 v70, v28, v12
	v_fmac_f16_e32 v72, v30, v13
	v_fmac_f16_e32 v74, v31, v6
	v_fmac_f16_e32 v76, v29, v7
	v_fma_f16 v6, v57, v6, -v75
	v_fma_f16 v7, v56, v7, -v36
	v_add_f16_e32 v28, v58, v60
	v_fma_f16 v8, v33, v8, -v63
	v_fma_f16 v9, v47, v9, -v65
	v_add_f16_e32 v33, v62, v64
	v_fma_f16 v10, v44, v10, -v67
	v_fma_f16 v11, v48, v11, -v69
	;; [unrolled: 1-line block ×4, first 2 shown]
	v_add_f16_e32 v27, v25, v58
	v_sub_f16_e32 v29, v4, v5
	v_add_f16_e32 v30, v49, v4
	v_add_f16_e32 v4, v4, v5
	;; [unrolled: 1-line block ×6, first 2 shown]
	v_sub_f16_e32 v36, v62, v64
	v_sub_f16_e32 v61, v6, v7
	v_add_f16_e32 v62, v54, v6
	v_add_f16_e32 v6, v6, v7
	v_fmac_f16_e32 v25, -0.5, v28
	v_sub_f16_e32 v34, v8, v9
	v_add_f16_e32 v35, v50, v8
	v_add_f16_e32 v8, v8, v9
	v_fmac_f16_e32 v24, -0.5, v33
	v_sub_f16_e32 v31, v58, v60
	v_add_f16_e32 v37, v23, v66
	v_sub_f16_e32 v42, v10, v11
	v_add_f16_e32 v44, v51, v10
	v_add_f16_e32 v10, v10, v11
	;; [unrolled: 1-line block ×3, first 2 shown]
	v_sub_f16_e32 v55, v12, v13
	v_add_f16_e32 v56, v52, v12
	v_add_f16_e32 v12, v12, v13
	;; [unrolled: 1-line block ×4, first 2 shown]
	v_fmac_f16_e32 v49, -0.5, v4
	v_fmac_f16_e32 v23, -0.5, v39
	;; [unrolled: 1-line block ×5, first 2 shown]
	v_fmamk_f16 v6, v29, 0xbaee, v25
	v_fmac_f16_e32 v25, 0x3aee, v29
	v_add_f16_e32 v4, v32, v64
	v_fmac_f16_e32 v50, -0.5, v8
	v_fmamk_f16 v29, v34, 0xbaee, v24
	v_sub_f16_e32 v47, v66, v68
	v_sub_f16_e32 v57, v70, v72
	;; [unrolled: 1-line block ×3, first 2 shown]
	v_add_f16_e32 v5, v30, v5
	v_add_f16_e32 v9, v35, v9
	v_add_f16_e32 v8, v37, v68
	v_fmac_f16_e32 v51, -0.5, v10
	v_add_f16_e32 v10, v48, v72
	v_fmac_f16_e32 v52, -0.5, v12
	v_add_f16_e32 v12, v58, v76
	v_fmamk_f16 v28, v31, 0x3aee, v49
	v_fmac_f16_e32 v49, 0xbaee, v31
	v_fmac_f16_e32 v24, 0x3aee, v34
	v_fmamk_f16 v31, v42, 0xbaee, v23
	v_fmac_f16_e32 v23, 0x3aee, v42
	v_fmamk_f16 v33, v55, 0xbaee, v21
	v_fmac_f16_e32 v21, 0x3aee, v55
	v_fmamk_f16 v35, v61, 0xbaee, v22
	v_fmac_f16_e32 v22, 0x3aee, v61
	ds_write_b16 v38, v27
	ds_write_b16 v38, v6 offset:18
	ds_write_b16 v38, v25 offset:36
	ds_write_b16 v20, v4
	ds_write_b16 v20, v29 offset:18
	ds_write_b16 v20, v24 offset:36
	ds_write_b16 v40, v8
	ds_write_b16 v40, v31 offset:18
	ds_write_b16 v40, v23 offset:36
	ds_write_b16 v26, v10
	ds_write_b16 v26, v33 offset:18
	ds_write_b16 v26, v21 offset:36
	ds_write_b16 v19, v12
	ds_write_b16 v19, v35 offset:18
	ds_write_b16 v19, v22 offset:36
	v_mul_lo_u16 v4, v43, 27
	v_fmamk_f16 v30, v36, 0x3aee, v50
	v_add_f16_e32 v11, v44, v11
	v_add_f16_e32 v13, v56, v13
	;; [unrolled: 1-line block ×3, first 2 shown]
	v_fmac_f16_e32 v50, 0xbaee, v36
	v_fmamk_f16 v32, v47, 0x3aee, v51
	v_fmac_f16_e32 v51, 0xbaee, v47
	v_fmamk_f16 v34, v57, 0x3aee, v52
	;; [unrolled: 2-line block ×3, first 2 shown]
	v_fmac_f16_e32 v54, 0xbaee, v63
	s_waitcnt lgkmcnt(0)
	s_barrier
	buffer_gl0_inv
	ds_read_u16 v10, v1
	ds_read_u16 v12, v1 offset:126
	ds_read_u16 v23, v1 offset:882
	ds_read_u16 v33, v1 offset:756
	ds_read_u16 v35, v1 offset:630
	ds_read_u16 v37, v1 offset:504
	ds_read_u16 v42, v1 offset:378
	ds_read_u16 v56, v1 offset:252
	ds_read_u16 v57, v1 offset:1764
	ds_read_u16 v58, v1 offset:1638
	ds_read_u16 v53, v1 offset:1512
	ds_read_u16 v59, v1 offset:1386
	ds_read_u16 v60, v1 offset:1260
	ds_read_u16 v61, v1 offset:1134
	ds_read_u16 v62, v1 offset:1008
	s_waitcnt lgkmcnt(0)
	s_barrier
	buffer_gl0_inv
	ds_write_b16 v38, v5
	ds_write_b16 v38, v28 offset:18
	ds_write_b16 v38, v49 offset:36
	ds_write_b16 v20, v9
	ds_write_b16 v20, v30 offset:18
	ds_write_b16 v20, v50 offset:36
	;; [unrolled: 3-line block ×5, first 2 shown]
	v_lshlrev_b32_sdwa v5, v45, v15 dst_sel:DWORD dst_unused:UNUSED_PAD src0_sel:DWORD src1_sel:BYTE_0
	v_sub_nc_u16 v4, v14, v4
	s_waitcnt lgkmcnt(0)
	s_barrier
	buffer_gl0_inv
	s_clause 0x1
	global_load_dwordx4 v[6:9], v41, s[8:9] offset:96
	global_load_dwordx4 v[25:28], v5, s[8:9] offset:96
	v_lshlrev_b32_sdwa v5, v45, v4 dst_sel:DWORD dst_unused:UNUSED_PAD src0_sel:DWORD src1_sel:BYTE_0
	v_lshlrev_b32_sdwa v13, v16, v46 dst_sel:DWORD dst_unused:UNUSED_PAD src0_sel:DWORD src1_sel:BYTE_0
	;; [unrolled: 1-line block ×4, first 2 shown]
	global_load_dwordx4 v[29:32], v5, s[8:9] offset:96
	v_mov_b32_e32 v5, 0x10e
	v_mul_u32_u24_sdwa v11, v17, v5 dst_sel:DWORD dst_unused:UNUSED_PAD src0_sel:WORD_0 src1_sel:DWORD
	v_mul_u32_u24_sdwa v18, v18, v5 dst_sel:DWORD dst_unused:UNUSED_PAD src0_sel:WORD_0 src1_sel:DWORD
	;; [unrolled: 1-line block ×3, first 2 shown]
	v_add3_u32 v17, 0, v11, v13
	ds_read_u16 v11, v1 offset:378
	ds_read_u16 v13, v1 offset:756
	v_add3_u32 v5, 0, v18, v15
	v_add3_u32 v4, 0, v19, v4
	ds_read_u16 v15, v1 offset:1134
	ds_read_u16 v16, v1 offset:1512
	ds_read_u16 v21, v1
	ds_read_u16 v19, v1 offset:126
	ds_read_u16 v18, v1 offset:504
	;; [unrolled: 1-line block ×10, first 2 shown]
	s_waitcnt vmcnt(0) lgkmcnt(0)
	s_barrier
	buffer_gl0_inv
	v_mul_f16_sdwa v49, v13, v7 dst_sel:DWORD dst_unused:UNUSED_PAD src0_sel:DWORD src1_sel:WORD_1
	v_mul_f16_sdwa v50, v15, v8 dst_sel:DWORD dst_unused:UNUSED_PAD src0_sel:DWORD src1_sel:WORD_1
	;; [unrolled: 1-line block ×15, first 2 shown]
	v_fmac_f16_e32 v49, v33, v7
	v_fmac_f16_e32 v50, v61, v8
	v_mul_f16_sdwa v66, v61, v8 dst_sel:DWORD dst_unused:UNUSED_PAD src0_sel:DWORD src1_sel:WORD_1
	v_fmac_f16_e32 v48, v42, v6
	v_fmac_f16_e32 v51, v53, v9
	v_mul_f16_sdwa v68, v37, v25 dst_sel:DWORD dst_unused:UNUSED_PAD src0_sel:DWORD src1_sel:WORD_1
	v_mul_f16_sdwa v69, v23, v26 dst_sel:DWORD dst_unused:UNUSED_PAD src0_sel:DWORD src1_sel:WORD_1
	v_mul_f16_sdwa v71, v58, v28 dst_sel:DWORD dst_unused:UNUSED_PAD src0_sel:DWORD src1_sel:WORD_1
	v_fmac_f16_e32 v45, v37, v25
	v_fmac_f16_e32 v44, v23, v26
	;; [unrolled: 1-line block ×3, first 2 shown]
	v_mul_f16_sdwa v70, v60, v27 dst_sel:DWORD dst_unused:UNUSED_PAD src0_sel:DWORD src1_sel:WORD_1
	v_mul_f16_sdwa v72, v35, v29 dst_sel:DWORD dst_unused:UNUSED_PAD src0_sel:DWORD src1_sel:WORD_1
	;; [unrolled: 1-line block ×5, first 2 shown]
	v_fmac_f16_e32 v47, v58, v28
	v_fmac_f16_e32 v39, v35, v29
	;; [unrolled: 1-line block ×5, first 2 shown]
	v_fma_f16 v54, v11, v6, -v41
	v_fma_f16 v55, v13, v7, -v52
	;; [unrolled: 1-line block ×3, first 2 shown]
	v_add_f16_e32 v7, v49, v50
	v_fma_f16 v52, v15, v8, -v66
	v_add_f16_e32 v16, v48, v51
	v_fma_f16 v13, v18, v25, -v68
	v_fma_f16 v41, v34, v26, -v69
	;; [unrolled: 1-line block ×3, first 2 shown]
	v_sub_f16_e32 v11, v48, v49
	v_sub_f16_e32 v15, v51, v50
	;; [unrolled: 1-line block ×4, first 2 shown]
	v_add_f16_e32 v25, v12, v45
	v_add_f16_e32 v26, v44, v46
	v_fma_f16 v42, v36, v27, -v70
	v_fma_f16 v36, v38, v29, -v72
	;; [unrolled: 1-line block ×5, first 2 shown]
	v_add_f16_e32 v6, v10, v48
	v_add_f16_e32 v31, v45, v47
	;; [unrolled: 1-line block ×4, first 2 shown]
	v_sub_f16_e32 v8, v54, v53
	v_sub_f16_e32 v32, v44, v45
	;; [unrolled: 1-line block ×3, first 2 shown]
	v_fma_f16 v7, -0.5, v7, v10
	v_sub_f16_e32 v9, v55, v52
	v_fmac_f16_e32 v10, -0.5, v16
	v_sub_f16_e32 v27, v13, v43
	v_sub_f16_e32 v29, v45, v44
	;; [unrolled: 1-line block ×3, first 2 shown]
	v_add_f16_e32 v34, v56, v39
	v_add_f16_e32 v11, v11, v15
	v_add_f16_e32 v15, v18, v23
	v_add_f16_e32 v23, v25, v44
	v_fma_f16 v25, -0.5, v26, v12
	v_sub_f16_e32 v28, v41, v42
	v_sub_f16_e32 v58, v36, v35
	;; [unrolled: 1-line block ×5, first 2 shown]
	v_add_f16_e32 v18, v6, v49
	v_fmac_f16_e32 v12, -0.5, v31
	v_fma_f16 v6, -0.5, v57, v56
	v_fmac_f16_e32 v56, -0.5, v62
	v_add_f16_e32 v26, v32, v33
	v_fmamk_f16 v32, v8, 0xbb9c, v7
	v_fmamk_f16 v33, v9, 0x3b9c, v10
	v_fmac_f16_e32 v10, 0xbb9c, v9
	v_add_f16_e32 v16, v29, v30
	v_add_f16_e32 v29, v34, v22
	v_fmac_f16_e32 v7, 0x3b9c, v8
	v_fmamk_f16 v34, v27, 0xbb9c, v25
	v_fmac_f16_e32 v25, 0x3b9c, v27
	v_sub_f16_e32 v63, v22, v39
	v_sub_f16_e32 v64, v24, v40
	v_add_f16_e32 v30, v60, v61
	v_add_f16_e32 v18, v18, v50
	v_fmamk_f16 v57, v28, 0x3b9c, v12
	v_fmac_f16_e32 v12, 0xbb9c, v28
	v_fmamk_f16 v60, v58, 0xbb9c, v6
	v_fmac_f16_e32 v6, 0x3b9c, v58
	;; [unrolled: 2-line block ×3, first 2 shown]
	v_fmac_f16_e32 v32, 0xb8b4, v9
	v_fmac_f16_e32 v33, 0xb8b4, v8
	;; [unrolled: 1-line block ×3, first 2 shown]
	v_add_f16_e32 v29, v29, v24
	v_fmac_f16_e32 v7, 0x38b4, v9
	v_fmac_f16_e32 v34, 0xb8b4, v28
	;; [unrolled: 1-line block ×3, first 2 shown]
	v_add_f16_e32 v31, v63, v64
	v_add_f16_e32 v23, v23, v46
	;; [unrolled: 1-line block ×3, first 2 shown]
	v_fmac_f16_e32 v57, 0xb8b4, v27
	v_fmac_f16_e32 v12, 0x38b4, v27
	v_fmac_f16_e32 v60, 0xb8b4, v59
	v_fmac_f16_e32 v6, 0x38b4, v59
	v_fmac_f16_e32 v61, 0xb8b4, v58
	v_fmac_f16_e32 v56, 0x38b4, v58
	v_fmac_f16_e32 v32, 0x34f2, v11
	v_fmac_f16_e32 v33, 0x34f2, v15
	v_fmac_f16_e32 v10, 0x34f2, v15
	v_add_f16_e32 v18, v29, v40
	v_fmac_f16_e32 v7, 0x34f2, v11
	v_fmac_f16_e32 v34, 0x34f2, v16
	;; [unrolled: 1-line block ×3, first 2 shown]
	v_add_f16_e32 v8, v23, v47
	v_fmac_f16_e32 v57, 0x34f2, v26
	v_fmac_f16_e32 v12, 0x34f2, v26
	;; [unrolled: 1-line block ×6, first 2 shown]
	ds_write_b16 v17, v9
	ds_write_b16 v17, v32 offset:54
	ds_write_b16 v17, v33 offset:108
	ds_write_b16 v17, v10 offset:162
	ds_write_b16 v17, v7 offset:216
	ds_write_b16 v5, v8
	ds_write_b16 v5, v34 offset:54
	ds_write_b16 v5, v57 offset:108
	ds_write_b16 v5, v12 offset:162
	ds_write_b16 v5, v25 offset:216
	;; [unrolled: 5-line block ×3, first 2 shown]
	s_waitcnt lgkmcnt(0)
	s_barrier
	buffer_gl0_inv
	ds_read_u16 v15, v1
	ds_read_u16 v29, v1 offset:1080
	ds_read_u16 v23, v1 offset:936
	;; [unrolled: 1-line block ×13, first 2 shown]
                                        ; implicit-def: $vgpr9
                                        ; implicit-def: $vgpr10
                                        ; implicit-def: $vgpr8
                                        ; implicit-def: $vgpr11
                                        ; implicit-def: $vgpr7
                                        ; implicit-def: $vgpr12
	s_and_saveexec_b32 s1, s0
	s_cbranch_execz .LBB0_13
; %bb.12:
	ds_read_u16 v6, v1 offset:252
	ds_read_u16 v9, v1 offset:522
	;; [unrolled: 1-line block ×7, first 2 shown]
.LBB0_13:
	s_or_b32 exec_lo, exec_lo, s1
	v_add_f16_e32 v56, v55, v52
	v_add_f16_e32 v57, v21, v54
	v_sub_f16_e32 v48, v48, v51
	v_sub_f16_e32 v49, v49, v50
	;; [unrolled: 1-line block ×3, first 2 shown]
	v_fma_f16 v51, -0.5, v56, v21
	v_sub_f16_e32 v56, v53, v52
	v_add_f16_e32 v58, v54, v53
	v_add_f16_e32 v57, v57, v55
	v_sub_f16_e32 v54, v55, v54
	v_fmamk_f16 v55, v48, 0x3b9c, v51
	v_add_f16_e32 v50, v50, v56
	v_fmac_f16_e32 v21, -0.5, v58
	v_add_f16_e32 v56, v57, v52
	v_fmac_f16_e32 v51, 0xbb9c, v48
	v_fmac_f16_e32 v55, 0x38b4, v49
	v_sub_f16_e32 v52, v52, v53
	v_fmamk_f16 v57, v49, 0xbb9c, v21
	v_add_f16_e32 v53, v56, v53
	v_fmac_f16_e32 v51, 0xb8b4, v49
	v_add_f16_e32 v56, v41, v42
	v_fmac_f16_e32 v21, 0x3b9c, v49
	v_add_f16_e32 v49, v19, v13
	v_add_f16_e32 v52, v54, v52
	v_sub_f16_e32 v45, v45, v47
	v_fma_f16 v54, -0.5, v56, v19
	v_fmac_f16_e32 v55, 0x34f2, v50
	v_add_f16_e32 v47, v49, v41
	v_fmac_f16_e32 v57, 0x38b4, v48
	v_fmac_f16_e32 v51, 0x34f2, v50
	;; [unrolled: 1-line block ×3, first 2 shown]
	v_fmamk_f16 v48, v45, 0x3b9c, v54
	v_sub_f16_e32 v44, v44, v46
	v_sub_f16_e32 v46, v13, v41
	v_sub_f16_e32 v49, v43, v42
	v_fmac_f16_e32 v54, 0xbb9c, v45
	v_add_f16_e32 v50, v13, v43
	v_add_f16_e32 v47, v47, v42
	v_fmac_f16_e32 v48, 0x38b4, v44
	v_add_f16_e32 v46, v46, v49
	v_fmac_f16_e32 v54, 0xb8b4, v44
	v_fmac_f16_e32 v19, -0.5, v50
	v_add_f16_e32 v47, v47, v43
	v_sub_f16_e32 v41, v41, v13
	v_sub_f16_e32 v42, v42, v43
	v_add_f16_e32 v43, v20, v36
	v_fmac_f16_e32 v48, 0x34f2, v46
	v_fmac_f16_e32 v54, 0x34f2, v46
	v_fmamk_f16 v46, v44, 0xbb9c, v19
	v_add_f16_e32 v49, v37, v38
	v_fmac_f16_e32 v19, 0x3b9c, v44
	v_sub_f16_e32 v39, v39, v40
	v_add_f16_e32 v40, v41, v42
	v_add_f16_e32 v41, v43, v37
	;; [unrolled: 1-line block ×3, first 2 shown]
	v_fma_f16 v13, -0.5, v49, v20
	v_fmac_f16_e32 v46, 0x38b4, v45
	v_fmac_f16_e32 v19, 0xb8b4, v45
	v_sub_f16_e32 v22, v22, v24
	v_fmac_f16_e32 v20, -0.5, v43
	v_fmamk_f16 v42, v39, 0x3b9c, v13
	v_fmac_f16_e32 v46, 0x34f2, v40
	v_fmac_f16_e32 v19, 0x34f2, v40
	v_add_f16_e32 v24, v41, v38
	v_sub_f16_e32 v40, v36, v37
	v_sub_f16_e32 v41, v35, v38
	v_fmac_f16_e32 v13, 0xbb9c, v39
	v_fmamk_f16 v43, v22, 0xbb9c, v20
	v_sub_f16_e32 v36, v37, v36
	v_sub_f16_e32 v37, v38, v35
	v_fmac_f16_e32 v20, 0x3b9c, v22
	v_fmac_f16_e32 v42, 0x38b4, v22
	v_add_f16_e32 v38, v40, v41
	v_fmac_f16_e32 v13, 0xb8b4, v22
	v_fmac_f16_e32 v43, 0x38b4, v39
	v_add_f16_e32 v22, v36, v37
	v_fmac_f16_e32 v20, 0xb8b4, v39
	v_fmac_f16_e32 v57, 0x34f2, v52
	;; [unrolled: 1-line block ×5, first 2 shown]
	v_add_f16_e32 v24, v24, v35
	v_fmac_f16_e32 v13, 0x34f2, v38
	v_fmac_f16_e32 v20, 0x34f2, v22
	s_waitcnt lgkmcnt(0)
	s_barrier
	buffer_gl0_inv
	ds_write_b16 v17, v53
	ds_write_b16 v17, v55 offset:54
	ds_write_b16 v17, v57 offset:108
	ds_write_b16 v17, v21 offset:162
	ds_write_b16 v17, v51 offset:216
	ds_write_b16 v5, v47
	ds_write_b16 v5, v48 offset:54
	ds_write_b16 v5, v46 offset:108
	ds_write_b16 v5, v19 offset:162
	ds_write_b16 v5, v54 offset:216
	;; [unrolled: 5-line block ×3, first 2 shown]
	s_waitcnt lgkmcnt(0)
	s_barrier
	buffer_gl0_inv
	ds_read_u16 v35, v1
	ds_read_u16 v43, v1 offset:1080
	ds_read_u16 v38, v1 offset:936
	;; [unrolled: 1-line block ×13, first 2 shown]
                                        ; implicit-def: $vgpr20
                                        ; implicit-def: $vgpr21
                                        ; implicit-def: $vgpr17
                                        ; implicit-def: $vgpr22
                                        ; implicit-def: $vgpr19
                                        ; implicit-def: $vgpr24
	s_and_saveexec_b32 s1, s0
	s_cbranch_execz .LBB0_15
; %bb.14:
	ds_read_u16 v13, v1 offset:252
	ds_read_u16 v20, v1 offset:522
	;; [unrolled: 1-line block ×7, first 2 shown]
.LBB0_15:
	s_or_b32 exec_lo, exec_lo, s1
	s_and_saveexec_b32 s1, vcc_lo
	s_cbranch_execz .LBB0_18
; %bb.16:
	v_mul_u32_u24_e32 v1, 6, v0
	v_add_co_u32 v2, vcc_lo, s2, v2
	v_add_co_ci_u32_e32 v3, vcc_lo, s3, v3, vcc_lo
	v_lshlrev_b32_e32 v1, 2, v1
	s_clause 0x1
	global_load_dwordx4 v[49:52], v1, s[8:9] offset:528
	global_load_dwordx2 v[57:58], v1, s[8:9] offset:544
	v_add_nc_u32_e32 v1, 0x5e8, v1
	s_clause 0x1
	global_load_dwordx4 v[53:56], v1, s[8:9] offset:528
	global_load_dwordx2 v[59:60], v1, s[8:9] offset:544
	v_mov_b32_e32 v1, 0
	v_lshlrev_b64 v[4:5], 2, v[0:1]
	v_add_co_u32 v2, vcc_lo, v2, v4
	v_add_co_ci_u32_e32 v3, vcc_lo, v3, v5, vcc_lo
	v_add_co_u32 v4, vcc_lo, 0x800, v2
	v_add_co_ci_u32_e32 v5, vcc_lo, 0, v3, vcc_lo
	s_waitcnt vmcnt(3)
	v_lshrrev_b32_e32 v61, 16, v49
	v_lshrrev_b32_e32 v63, 16, v51
	v_mul_f16_e32 v65, v34, v49
	v_mul_f16_e32 v67, v32, v51
	v_lshrrev_b32_e32 v62, 16, v50
	v_lshrrev_b32_e32 v64, 16, v52
	v_mul_f16_e32 v66, v29, v52
	v_mul_f16_e32 v68, v31, v50
	s_waitcnt vmcnt(2)
	v_lshrrev_b32_e32 v69, 16, v57
	v_lshrrev_b32_e32 v70, 16, v58
	v_mul_f16_e32 v71, v33, v58
	v_mul_f16_e32 v72, v30, v57
	;; [unrolled: 1-line block ×4, first 2 shown]
	s_waitcnt lgkmcnt(6)
	v_fmac_f16_e32 v65, v48, v61
	s_waitcnt vmcnt(1)
	v_lshrrev_b32_e32 v61, 16, v53
	v_fmac_f16_e32 v67, v47, v63
	v_lshrrev_b32_e32 v63, 16, v54
	s_waitcnt vmcnt(0)
	v_lshrrev_b32_e32 v74, 16, v60
	v_lshrrev_b32_e32 v75, 16, v59
	v_mul_f16_e32 v29, v29, v64
	v_mul_f16_e32 v31, v31, v62
	v_lshrrev_b32_e32 v73, 16, v55
	s_waitcnt lgkmcnt(3)
	v_fmac_f16_e32 v71, v45, v70
	v_mul_f16_e32 v33, v33, v70
	v_lshrrev_b32_e32 v70, 16, v56
	v_fmac_f16_e32 v66, v43, v64
	v_mul_f16_e32 v64, v25, v53
	v_fmac_f16_e32 v68, v46, v62
	v_mul_f16_e32 v62, v28, v60
	s_waitcnt lgkmcnt(1)
	v_fmac_f16_e32 v72, v44, v69
	v_mul_f16_e32 v30, v30, v69
	v_mul_f16_e32 v69, v23, v55
	;; [unrolled: 1-line block ×9, first 2 shown]
	v_fma_f16 v34, v48, v49, -v34
	v_fma_f16 v32, v47, v51, -v32
	;; [unrolled: 1-line block ×4, first 2 shown]
	v_fmac_f16_e32 v62, v41, v74
	v_fmac_f16_e32 v64, v39, v61
	;; [unrolled: 1-line block ×3, first 2 shown]
	v_mul_f16_e32 v23, v23, v73
	s_waitcnt lgkmcnt(0)
	v_fmac_f16_e32 v76, v42, v70
	v_mul_f16_e32 v27, v27, v70
	v_fmac_f16_e32 v77, v37, v63
	v_fmac_f16_e32 v78, v40, v75
	v_sub_f16_e32 v43, v65, v71
	v_sub_f16_e32 v46, v66, v67
	v_fma_f16 v33, v45, v58, -v33
	v_sub_f16_e32 v45, v68, v72
	v_fma_f16 v30, v44, v57, -v30
	v_add_f16_e32 v44, v65, v71
	v_add_f16_e32 v47, v66, v67
	;; [unrolled: 1-line block ×3, first 2 shown]
	v_fma_f16 v28, v41, v60, -v28
	v_fma_f16 v25, v39, v53, -v25
	;; [unrolled: 1-line block ×4, first 2 shown]
	v_sub_f16_e32 v49, v64, v62
	v_sub_f16_e32 v50, v76, v69
	;; [unrolled: 1-line block ×3, first 2 shown]
	v_fma_f16 v23, v38, v55, -v23
	v_fma_f16 v27, v42, v56, -v27
	v_add_f16_e32 v37, v64, v62
	v_add_f16_e32 v38, v76, v69
	;; [unrolled: 1-line block ×3, first 2 shown]
	v_sub_f16_e32 v40, v43, v46
	v_sub_f16_e32 v41, v46, v45
	v_add_f16_e32 v42, v46, v45
	v_add_f16_e32 v46, v34, v33
	;; [unrolled: 1-line block ×4, first 2 shown]
	v_sub_f16_e32 v54, v44, v47
	v_sub_f16_e32 v55, v47, v48
	v_add_f16_e32 v56, v44, v48
	v_sub_f16_e32 v33, v34, v33
	v_sub_f16_e32 v29, v29, v32
	;; [unrolled: 1-line block ×5, first 2 shown]
	v_add_f16_e32 v48, v25, v28
	v_add_f16_e32 v57, v18, v26
	v_sub_f16_e32 v34, v49, v50
	v_sub_f16_e32 v44, v50, v51
	v_add_f16_e32 v45, v50, v51
	v_add_f16_e32 v50, v27, v23
	v_sub_f16_e32 v58, v37, v38
	v_sub_f16_e32 v59, v38, v39
	v_add_f16_e32 v60, v37, v39
	v_sub_f16_e32 v25, v25, v28
	v_sub_f16_e32 v23, v27, v23
	v_sub_f16_e32 v18, v18, v26
	v_sub_f16_e32 v26, v51, v49
	v_sub_f16_e32 v27, v39, v37
	v_mul_f16_e32 v28, 0x3846, v41
	v_add_f16_e32 v37, v43, v42
	v_add_f16_e32 v42, v46, v53
	v_mul_f16_e32 v43, 0x3a52, v54
	v_mul_f16_e32 v51, 0x2b26, v55
	v_add_f16_e32 v47, v47, v56
	v_sub_f16_e32 v55, v33, v29
	v_sub_f16_e32 v56, v29, v30
	v_add_f16_e32 v29, v29, v30
	v_mul_f16_e32 v61, 0xbb00, v31
	v_sub_f16_e32 v30, v30, v33
	v_add_f16_e32 v62, v48, v57
	v_sub_f16_e32 v39, v46, v52
	v_sub_f16_e32 v41, v52, v53
	;; [unrolled: 1-line block ×3, first 2 shown]
	v_mul_f16_e32 v44, 0x3846, v44
	v_add_f16_e32 v45, v49, v45
	v_sub_f16_e32 v49, v48, v50
	v_sub_f16_e32 v53, v50, v57
	v_mul_f16_e32 v59, 0x2b26, v59
	v_add_f16_e32 v38, v38, v60
	v_sub_f16_e32 v60, v25, v23
	v_sub_f16_e32 v64, v23, v18
	v_add_f16_e32 v23, v23, v18
	v_sub_f16_e32 v48, v57, v48
	v_sub_f16_e32 v18, v18, v25
	v_fmamk_f16 v57, v40, 0xb574, v28
	v_add_f16_e32 v42, v52, v42
	v_fmamk_f16 v52, v54, 0x3a52, v51
	v_add_f16_e32 v15, v15, v47
	v_mul_f16_e32 v54, 0x3846, v56
	v_add_f16_e32 v29, v33, v29
	v_fma_f16 v33, v40, 0x3574, -v61
	v_fma_f16 v40, v32, 0xb9e0, -v43
	v_mul_f16_e32 v43, 0xbb00, v30
	v_add_f16_e32 v50, v50, v62
	v_mul_f16_e32 v63, 0x3a52, v58
	v_mul_f16_e32 v65, 0xbb00, v26
	;; [unrolled: 1-line block ×4, first 2 shown]
	v_fma_f16 v28, v31, 0xbb00, -v28
	v_fma_f16 v31, v32, 0x39e0, -v51
	v_fmamk_f16 v32, v34, 0xb574, v44
	v_mul_f16_e32 v51, 0x3a52, v49
	v_mul_f16_e32 v53, 0x2b26, v53
	v_fmamk_f16 v56, v58, 0x3a52, v59
	v_add_f16_e32 v16, v16, v38
	v_mul_f16_e32 v58, 0x3846, v64
	v_mul_f16_e32 v61, 0xbb00, v18
	v_fma_f16 v26, v26, 0xbb00, -v44
	v_add_f16_e32 v35, v35, v42
	v_fmamk_f16 v44, v47, 0xbcab, v15
	v_fmamk_f16 v47, v55, 0xb574, v54
	v_fma_f16 v43, v55, 0x3574, -v43
	v_fma_f16 v30, v30, 0xbb00, -v54
	v_add_f16_e32 v36, v36, v50
	v_add_f16_e32 v23, v25, v23
	v_fma_f16 v25, v34, 0x3574, -v65
	v_fma_f16 v34, v27, 0xb9e0, -v63
	;; [unrolled: 1-line block ×3, first 2 shown]
	v_fmac_f16_e32 v57, 0xb70e, v37
	v_fmamk_f16 v39, v39, 0x3a52, v41
	v_fmac_f16_e32 v33, 0xb70e, v37
	v_fma_f16 v59, v46, 0xb9e0, -v66
	v_fma_f16 v41, v46, 0x39e0, -v41
	v_fmac_f16_e32 v28, 0xb70e, v37
	v_fmamk_f16 v37, v49, 0x3a52, v53
	v_fmamk_f16 v38, v38, 0xbcab, v16
	;; [unrolled: 1-line block ×3, first 2 shown]
	v_fma_f16 v49, v48, 0xb9e0, -v51
	v_fma_f16 v51, v60, 0x3574, -v61
	;; [unrolled: 1-line block ×3, first 2 shown]
	v_fmamk_f16 v42, v42, 0xbcab, v35
	v_fmac_f16_e32 v47, 0xb70e, v29
	v_fmac_f16_e32 v43, 0xb70e, v29
	;; [unrolled: 1-line block ×3, first 2 shown]
	v_add_f16_e32 v29, v31, v44
	v_pack_b32_f16 v15, v15, v35
	v_fmamk_f16 v31, v50, 0xbcab, v36
	v_fma_f16 v48, v48, 0x39e0, -v53
	v_fmac_f16_e32 v32, 0xb70e, v45
	v_fmac_f16_e32 v25, 0xb70e, v45
	;; [unrolled: 1-line block ×3, first 2 shown]
	v_add_f16_e32 v45, v52, v44
	v_add_f16_e32 v40, v40, v44
	;; [unrolled: 1-line block ×3, first 2 shown]
	v_fmac_f16_e32 v46, 0xb70e, v23
	v_add_f16_e32 v34, v34, v38
	v_fmac_f16_e32 v51, 0xb70e, v23
	v_fmac_f16_e32 v18, 0xb70e, v23
	v_add_f16_e32 v23, v27, v38
	v_add_f16_e32 v27, v39, v42
	global_store_dword v[2:3], v15, off
	v_pack_b32_f16 v15, v16, v36
	v_add_f16_e32 v16, v37, v31
	v_add_f16_e32 v39, v59, v42
	;; [unrolled: 1-line block ×5, first 2 shown]
	v_sub_f16_e32 v38, v45, v47
	v_sub_f16_e32 v44, v40, v43
	v_add_f16_e32 v42, v30, v29
	v_sub_f16_e32 v29, v29, v30
	v_add_f16_e32 v30, v43, v40
	v_add_f16_e32 v40, v47, v45
	v_sub_f16_e32 v36, v35, v46
	v_sub_f16_e32 v43, v34, v51
	v_add_f16_e32 v45, v18, v23
	v_sub_f16_e32 v18, v23, v18
	v_add_f16_e32 v23, v51, v34
	v_add_f16_e32 v34, v46, v35
	;; [unrolled: 1-line block ×3, first 2 shown]
	v_sub_f16_e32 v27, v27, v57
	global_store_dword v[2:3], v15, off offset:252
	v_add_f16_e32 v15, v32, v16
	v_sub_f16_e32 v16, v16, v32
	v_add_f16_e32 v46, v33, v39
	v_sub_f16_e32 v33, v39, v33
	;; [unrolled: 2-line block ×3, first 2 shown]
	v_sub_f16_e32 v47, v41, v28
	v_add_f16_e32 v28, v28, v41
	v_sub_f16_e32 v41, v31, v26
	v_add_f16_e32 v26, v26, v31
	v_pack_b32_f16 v27, v40, v27
	v_pack_b32_f16 v16, v34, v16
	;; [unrolled: 1-line block ×11, first 2 shown]
	global_store_dword v[2:3], v27, off offset:540
	global_store_dword v[2:3], v30, off offset:1080
	;; [unrolled: 1-line block ×6, first 2 shown]
	v_pack_b32_f16 v15, v36, v15
	global_store_dword v[2:3], v16, off offset:792
	global_store_dword v[2:3], v23, off offset:1332
	;; [unrolled: 1-line block ×6, first 2 shown]
	s_and_b32 exec_lo, exec_lo, s0
	s_cbranch_execz .LBB0_18
; %bb.17:
	v_add_nc_u32_e32 v0, -9, v0
	v_cndmask_b32_e64 v0, v0, v14, s0
	v_mul_i32_i24_e32 v0, 6, v0
	v_lshlrev_b64 v[0:1], 2, v[0:1]
	v_add_co_u32 v0, vcc_lo, s8, v0
	v_add_co_ci_u32_e32 v1, vcc_lo, s9, v1, vcc_lo
	s_clause 0x1
	global_load_dwordx4 v[25:28], v[0:1], off offset:528
	global_load_dwordx2 v[0:1], v[0:1], off offset:544
	s_waitcnt vmcnt(1)
	v_mul_f16_sdwa v14, v20, v25 dst_sel:DWORD dst_unused:UNUSED_PAD src0_sel:DWORD src1_sel:WORD_1
	v_mul_f16_sdwa v15, v9, v25 dst_sel:DWORD dst_unused:UNUSED_PAD src0_sel:DWORD src1_sel:WORD_1
	;; [unrolled: 1-line block ×4, first 2 shown]
	s_waitcnt vmcnt(0)
	v_mul_f16_sdwa v32, v19, v0 dst_sel:DWORD dst_unused:UNUSED_PAD src0_sel:DWORD src1_sel:WORD_1
	v_mul_f16_sdwa v33, v7, v0 dst_sel:DWORD dst_unused:UNUSED_PAD src0_sel:DWORD src1_sel:WORD_1
	;; [unrolled: 1-line block ×8, first 2 shown]
	v_fmac_f16_e32 v14, v9, v25
	v_fma_f16 v9, v20, v25, -v15
	v_fmac_f16_e32 v16, v10, v26
	v_fma_f16 v10, v21, v26, -v18
	;; [unrolled: 2-line block ×6, first 2 shown]
	v_add_f16_e32 v7, v14, v34
	v_add_f16_e32 v11, v9, v1
	v_sub_f16_e32 v1, v9, v1
	v_add_f16_e32 v9, v16, v32
	v_add_f16_e32 v15, v10, v0
	v_sub_f16_e32 v16, v16, v32
	v_sub_f16_e32 v0, v10, v0
	v_add_f16_e32 v10, v23, v30
	v_add_f16_e32 v17, v12, v8
	v_sub_f16_e32 v18, v30, v23
	;; [unrolled: 4-line block ×3, first 2 shown]
	v_sub_f16_e32 v20, v9, v7
	v_sub_f16_e32 v21, v15, v11
	;; [unrolled: 1-line block ×6, first 2 shown]
	v_add_f16_e32 v22, v18, v16
	v_add_f16_e32 v23, v8, v0
	v_sub_f16_e32 v24, v18, v16
	v_sub_f16_e32 v25, v8, v0
	;; [unrolled: 1-line block ×3, first 2 shown]
	v_add_f16_e32 v10, v10, v12
	v_add_f16_e32 v12, v17, v19
	v_sub_f16_e32 v16, v16, v14
	v_sub_f16_e32 v18, v14, v18
	;; [unrolled: 1-line block ×3, first 2 shown]
	v_add_f16_e32 v14, v22, v14
	v_add_f16_e32 v1, v23, v1
	v_mul_f16_e32 v7, 0x3a52, v7
	v_mul_f16_e32 v11, 0x3a52, v11
	;; [unrolled: 1-line block ×7, first 2 shown]
	v_add_f16_e32 v6, v6, v10
	v_add_f16_e32 v13, v13, v12
	v_mul_f16_e32 v24, 0xbb00, v16
	v_fmamk_f16 v9, v9, 0x2b26, v7
	v_fmamk_f16 v15, v15, 0x2b26, v11
	v_fma_f16 v17, v20, 0x39e0, -v17
	v_fma_f16 v19, v21, 0x39e0, -v19
	;; [unrolled: 1-line block ×4, first 2 shown]
	v_fmamk_f16 v20, v18, 0xb574, v22
	v_fmamk_f16 v21, v8, 0xb574, v23
	v_fma_f16 v0, v0, 0xbb00, -v23
	v_fma_f16 v8, v8, 0x3574, -v25
	v_fmamk_f16 v10, v10, 0xbcab, v6
	v_fmamk_f16 v12, v12, 0xbcab, v13
	v_fma_f16 v18, v18, 0x3574, -v24
	v_fma_f16 v16, v16, 0xbb00, -v22
	v_fmac_f16_e32 v20, 0xb70e, v14
	v_fmac_f16_e32 v21, 0xb70e, v1
	;; [unrolled: 1-line block ×4, first 2 shown]
	v_pack_b32_f16 v1, v6, v13
	v_add_f16_e32 v6, v9, v10
	v_add_f16_e32 v9, v15, v12
	v_fmac_f16_e32 v18, 0xb70e, v14
	v_add_f16_e32 v13, v17, v10
	v_add_f16_e32 v7, v7, v10
	;; [unrolled: 1-line block ×3, first 2 shown]
	v_fmac_f16_e32 v16, 0xb70e, v14
	v_add_f16_e32 v14, v19, v12
	global_store_dword v[2:3], v1, off offset:504
	v_add_f16_e32 v1, v21, v6
	v_sub_f16_e32 v11, v9, v20
	v_add_f16_e32 v12, v8, v7
	v_sub_f16_e32 v15, v10, v18
	v_sub_f16_e32 v17, v13, v0
	v_add_f16_e32 v19, v16, v14
	v_add_f16_e32 v0, v0, v13
	v_sub_f16_e32 v13, v14, v16
	v_sub_f16_e32 v7, v7, v8
	v_add_f16_e32 v8, v18, v10
	v_sub_f16_e32 v6, v6, v21
	v_add_f16_e32 v9, v20, v9
	v_pack_b32_f16 v1, v1, v11
	v_pack_b32_f16 v10, v12, v15
	v_pack_b32_f16 v11, v17, v19
	v_pack_b32_f16 v0, v0, v13
	v_pack_b32_f16 v7, v7, v8
	v_pack_b32_f16 v6, v6, v9
	global_store_dword v[2:3], v1, off offset:1044
	global_store_dword v[2:3], v10, off offset:1584
	;; [unrolled: 1-line block ×6, first 2 shown]
.LBB0_18:
	s_endpgm
	.section	.rodata,"a",@progbits
	.p2align	6, 0x0
	.amdhsa_kernel fft_rtc_back_len945_factors_3_3_3_5_7_wgs_63_tpt_63_halfLds_half_ip_CI_unitstride_sbrr_dirReg
		.amdhsa_group_segment_fixed_size 0
		.amdhsa_private_segment_fixed_size 0
		.amdhsa_kernarg_size 88
		.amdhsa_user_sgpr_count 6
		.amdhsa_user_sgpr_private_segment_buffer 1
		.amdhsa_user_sgpr_dispatch_ptr 0
		.amdhsa_user_sgpr_queue_ptr 0
		.amdhsa_user_sgpr_kernarg_segment_ptr 1
		.amdhsa_user_sgpr_dispatch_id 0
		.amdhsa_user_sgpr_flat_scratch_init 0
		.amdhsa_user_sgpr_private_segment_size 0
		.amdhsa_wavefront_size32 1
		.amdhsa_uses_dynamic_stack 0
		.amdhsa_system_sgpr_private_segment_wavefront_offset 0
		.amdhsa_system_sgpr_workgroup_id_x 1
		.amdhsa_system_sgpr_workgroup_id_y 0
		.amdhsa_system_sgpr_workgroup_id_z 0
		.amdhsa_system_sgpr_workgroup_info 0
		.amdhsa_system_vgpr_workitem_id 0
		.amdhsa_next_free_vgpr 79
		.amdhsa_next_free_sgpr 21
		.amdhsa_reserve_vcc 1
		.amdhsa_reserve_flat_scratch 0
		.amdhsa_float_round_mode_32 0
		.amdhsa_float_round_mode_16_64 0
		.amdhsa_float_denorm_mode_32 3
		.amdhsa_float_denorm_mode_16_64 3
		.amdhsa_dx10_clamp 1
		.amdhsa_ieee_mode 1
		.amdhsa_fp16_overflow 0
		.amdhsa_workgroup_processor_mode 1
		.amdhsa_memory_ordered 1
		.amdhsa_forward_progress 0
		.amdhsa_shared_vgpr_count 0
		.amdhsa_exception_fp_ieee_invalid_op 0
		.amdhsa_exception_fp_denorm_src 0
		.amdhsa_exception_fp_ieee_div_zero 0
		.amdhsa_exception_fp_ieee_overflow 0
		.amdhsa_exception_fp_ieee_underflow 0
		.amdhsa_exception_fp_ieee_inexact 0
		.amdhsa_exception_int_div_zero 0
	.end_amdhsa_kernel
	.text
.Lfunc_end0:
	.size	fft_rtc_back_len945_factors_3_3_3_5_7_wgs_63_tpt_63_halfLds_half_ip_CI_unitstride_sbrr_dirReg, .Lfunc_end0-fft_rtc_back_len945_factors_3_3_3_5_7_wgs_63_tpt_63_halfLds_half_ip_CI_unitstride_sbrr_dirReg
                                        ; -- End function
	.section	.AMDGPU.csdata,"",@progbits
; Kernel info:
; codeLenInByte = 10196
; NumSgprs: 23
; NumVgprs: 79
; ScratchSize: 0
; MemoryBound: 0
; FloatMode: 240
; IeeeMode: 1
; LDSByteSize: 0 bytes/workgroup (compile time only)
; SGPRBlocks: 2
; VGPRBlocks: 9
; NumSGPRsForWavesPerEU: 23
; NumVGPRsForWavesPerEU: 79
; Occupancy: 12
; WaveLimiterHint : 1
; COMPUTE_PGM_RSRC2:SCRATCH_EN: 0
; COMPUTE_PGM_RSRC2:USER_SGPR: 6
; COMPUTE_PGM_RSRC2:TRAP_HANDLER: 0
; COMPUTE_PGM_RSRC2:TGID_X_EN: 1
; COMPUTE_PGM_RSRC2:TGID_Y_EN: 0
; COMPUTE_PGM_RSRC2:TGID_Z_EN: 0
; COMPUTE_PGM_RSRC2:TIDIG_COMP_CNT: 0
	.text
	.p2alignl 6, 3214868480
	.fill 48, 4, 3214868480
	.type	__hip_cuid_e2c500f3f405e454,@object ; @__hip_cuid_e2c500f3f405e454
	.section	.bss,"aw",@nobits
	.globl	__hip_cuid_e2c500f3f405e454
__hip_cuid_e2c500f3f405e454:
	.byte	0                               ; 0x0
	.size	__hip_cuid_e2c500f3f405e454, 1

	.ident	"AMD clang version 19.0.0git (https://github.com/RadeonOpenCompute/llvm-project roc-6.4.0 25133 c7fe45cf4b819c5991fe208aaa96edf142730f1d)"
	.section	".note.GNU-stack","",@progbits
	.addrsig
	.addrsig_sym __hip_cuid_e2c500f3f405e454
	.amdgpu_metadata
---
amdhsa.kernels:
  - .args:
      - .actual_access:  read_only
        .address_space:  global
        .offset:         0
        .size:           8
        .value_kind:     global_buffer
      - .offset:         8
        .size:           8
        .value_kind:     by_value
      - .actual_access:  read_only
        .address_space:  global
        .offset:         16
        .size:           8
        .value_kind:     global_buffer
      - .actual_access:  read_only
        .address_space:  global
        .offset:         24
        .size:           8
        .value_kind:     global_buffer
      - .offset:         32
        .size:           8
        .value_kind:     by_value
      - .actual_access:  read_only
        .address_space:  global
        .offset:         40
        .size:           8
        .value_kind:     global_buffer
      - .actual_access:  read_only
        .address_space:  global
        .offset:         48
        .size:           8
        .value_kind:     global_buffer
      - .offset:         56
        .size:           4
        .value_kind:     by_value
      - .actual_access:  read_only
        .address_space:  global
        .offset:         64
        .size:           8
        .value_kind:     global_buffer
      - .actual_access:  read_only
        .address_space:  global
        .offset:         72
        .size:           8
        .value_kind:     global_buffer
      - .address_space:  global
        .offset:         80
        .size:           8
        .value_kind:     global_buffer
    .group_segment_fixed_size: 0
    .kernarg_segment_align: 8
    .kernarg_segment_size: 88
    .language:       OpenCL C
    .language_version:
      - 2
      - 0
    .max_flat_workgroup_size: 63
    .name:           fft_rtc_back_len945_factors_3_3_3_5_7_wgs_63_tpt_63_halfLds_half_ip_CI_unitstride_sbrr_dirReg
    .private_segment_fixed_size: 0
    .sgpr_count:     23
    .sgpr_spill_count: 0
    .symbol:         fft_rtc_back_len945_factors_3_3_3_5_7_wgs_63_tpt_63_halfLds_half_ip_CI_unitstride_sbrr_dirReg.kd
    .uniform_work_group_size: 1
    .uses_dynamic_stack: false
    .vgpr_count:     79
    .vgpr_spill_count: 0
    .wavefront_size: 32
    .workgroup_processor_mode: 1
amdhsa.target:   amdgcn-amd-amdhsa--gfx1030
amdhsa.version:
  - 1
  - 2
...

	.end_amdgpu_metadata
